;; amdgpu-corpus repo=ROCm/rocFFT kind=compiled arch=gfx906 opt=O3
	.text
	.amdgcn_target "amdgcn-amd-amdhsa--gfx906"
	.amdhsa_code_object_version 6
	.protected	fft_rtc_back_len792_factors_2_2_2_3_3_11_wgs_176_tpt_88_half_ip_CI_unitstride_sbrr_C2R_dirReg ; -- Begin function fft_rtc_back_len792_factors_2_2_2_3_3_11_wgs_176_tpt_88_half_ip_CI_unitstride_sbrr_C2R_dirReg
	.globl	fft_rtc_back_len792_factors_2_2_2_3_3_11_wgs_176_tpt_88_half_ip_CI_unitstride_sbrr_C2R_dirReg
	.p2align	8
	.type	fft_rtc_back_len792_factors_2_2_2_3_3_11_wgs_176_tpt_88_half_ip_CI_unitstride_sbrr_C2R_dirReg,@function
fft_rtc_back_len792_factors_2_2_2_3_3_11_wgs_176_tpt_88_half_ip_CI_unitstride_sbrr_C2R_dirReg: ; @fft_rtc_back_len792_factors_2_2_2_3_3_11_wgs_176_tpt_88_half_ip_CI_unitstride_sbrr_C2R_dirReg
; %bb.0:
	s_load_dwordx2 s[2:3], s[4:5], 0x50
	s_load_dwordx4 s[8:11], s[4:5], 0x0
	s_load_dwordx2 s[12:13], s[4:5], 0x18
	v_mul_u32_u24_e32 v1, 0x2e9, v0
	v_lshrrev_b32_e32 v9, 16, v1
	v_mov_b32_e32 v3, 0
	s_waitcnt lgkmcnt(0)
	v_cmp_lt_u64_e64 s[0:1], s[10:11], 2
	v_mov_b32_e32 v1, 0
	v_lshl_add_u32 v5, s6, 1, v9
	v_mov_b32_e32 v6, v3
	s_and_b64 vcc, exec, s[0:1]
	v_mov_b32_e32 v2, 0
	s_cbranch_vccnz .LBB0_8
; %bb.1:
	s_load_dwordx2 s[0:1], s[4:5], 0x10
	s_add_u32 s6, s12, 8
	s_addc_u32 s7, s13, 0
	v_mov_b32_e32 v1, 0
	v_mov_b32_e32 v2, 0
	s_waitcnt lgkmcnt(0)
	s_add_u32 s14, s0, 8
	s_addc_u32 s15, s1, 0
	s_mov_b64 s[16:17], 1
.LBB0_2:                                ; =>This Inner Loop Header: Depth=1
	s_load_dwordx2 s[18:19], s[14:15], 0x0
                                        ; implicit-def: $vgpr7_vgpr8
	s_waitcnt lgkmcnt(0)
	v_or_b32_e32 v4, s19, v6
	v_cmp_ne_u64_e32 vcc, 0, v[3:4]
	s_and_saveexec_b64 s[0:1], vcc
	s_xor_b64 s[20:21], exec, s[0:1]
	s_cbranch_execz .LBB0_4
; %bb.3:                                ;   in Loop: Header=BB0_2 Depth=1
	v_cvt_f32_u32_e32 v4, s18
	v_cvt_f32_u32_e32 v7, s19
	s_sub_u32 s0, 0, s18
	s_subb_u32 s1, 0, s19
	v_mac_f32_e32 v4, 0x4f800000, v7
	v_rcp_f32_e32 v4, v4
	v_mul_f32_e32 v4, 0x5f7ffffc, v4
	v_mul_f32_e32 v7, 0x2f800000, v4
	v_trunc_f32_e32 v7, v7
	v_mac_f32_e32 v4, 0xcf800000, v7
	v_cvt_u32_f32_e32 v7, v7
	v_cvt_u32_f32_e32 v4, v4
	v_mul_lo_u32 v8, s0, v7
	v_mul_hi_u32 v10, s0, v4
	v_mul_lo_u32 v12, s1, v4
	v_mul_lo_u32 v11, s0, v4
	v_add_u32_e32 v8, v10, v8
	v_add_u32_e32 v8, v8, v12
	v_mul_hi_u32 v10, v4, v11
	v_mul_lo_u32 v12, v4, v8
	v_mul_hi_u32 v14, v4, v8
	v_mul_hi_u32 v13, v7, v11
	v_mul_lo_u32 v11, v7, v11
	v_mul_hi_u32 v15, v7, v8
	v_add_co_u32_e32 v10, vcc, v10, v12
	v_addc_co_u32_e32 v12, vcc, 0, v14, vcc
	v_mul_lo_u32 v8, v7, v8
	v_add_co_u32_e32 v10, vcc, v10, v11
	v_addc_co_u32_e32 v10, vcc, v12, v13, vcc
	v_addc_co_u32_e32 v11, vcc, 0, v15, vcc
	v_add_co_u32_e32 v8, vcc, v10, v8
	v_addc_co_u32_e32 v10, vcc, 0, v11, vcc
	v_add_co_u32_e32 v4, vcc, v4, v8
	v_addc_co_u32_e32 v7, vcc, v7, v10, vcc
	v_mul_lo_u32 v8, s0, v7
	v_mul_hi_u32 v10, s0, v4
	v_mul_lo_u32 v11, s1, v4
	v_mul_lo_u32 v12, s0, v4
	v_add_u32_e32 v8, v10, v8
	v_add_u32_e32 v8, v8, v11
	v_mul_lo_u32 v13, v4, v8
	v_mul_hi_u32 v14, v4, v12
	v_mul_hi_u32 v15, v4, v8
	;; [unrolled: 1-line block ×3, first 2 shown]
	v_mul_lo_u32 v12, v7, v12
	v_mul_hi_u32 v10, v7, v8
	v_add_co_u32_e32 v13, vcc, v14, v13
	v_addc_co_u32_e32 v14, vcc, 0, v15, vcc
	v_mul_lo_u32 v8, v7, v8
	v_add_co_u32_e32 v12, vcc, v13, v12
	v_addc_co_u32_e32 v11, vcc, v14, v11, vcc
	v_addc_co_u32_e32 v10, vcc, 0, v10, vcc
	v_add_co_u32_e32 v8, vcc, v11, v8
	v_addc_co_u32_e32 v10, vcc, 0, v10, vcc
	v_add_co_u32_e32 v4, vcc, v4, v8
	v_addc_co_u32_e32 v10, vcc, v7, v10, vcc
	v_mad_u64_u32 v[7:8], s[0:1], v5, v10, 0
	v_mul_hi_u32 v11, v5, v4
	v_add_co_u32_e32 v12, vcc, v11, v7
	v_addc_co_u32_e32 v13, vcc, 0, v8, vcc
	v_mad_u64_u32 v[7:8], s[0:1], v6, v4, 0
	v_mad_u64_u32 v[10:11], s[0:1], v6, v10, 0
	v_add_co_u32_e32 v4, vcc, v12, v7
	v_addc_co_u32_e32 v4, vcc, v13, v8, vcc
	v_addc_co_u32_e32 v7, vcc, 0, v11, vcc
	v_add_co_u32_e32 v4, vcc, v4, v10
	v_addc_co_u32_e32 v10, vcc, 0, v7, vcc
	v_mul_lo_u32 v11, s19, v4
	v_mul_lo_u32 v12, s18, v10
	v_mad_u64_u32 v[7:8], s[0:1], s18, v4, 0
	v_add3_u32 v8, v8, v12, v11
	v_sub_u32_e32 v11, v6, v8
	v_mov_b32_e32 v12, s19
	v_sub_co_u32_e32 v7, vcc, v5, v7
	v_subb_co_u32_e64 v11, s[0:1], v11, v12, vcc
	v_subrev_co_u32_e64 v12, s[0:1], s18, v7
	v_subbrev_co_u32_e64 v11, s[0:1], 0, v11, s[0:1]
	v_cmp_le_u32_e64 s[0:1], s19, v11
	v_cndmask_b32_e64 v13, 0, -1, s[0:1]
	v_cmp_le_u32_e64 s[0:1], s18, v12
	v_cndmask_b32_e64 v12, 0, -1, s[0:1]
	v_cmp_eq_u32_e64 s[0:1], s19, v11
	v_cndmask_b32_e64 v11, v13, v12, s[0:1]
	v_add_co_u32_e64 v12, s[0:1], 2, v4
	v_addc_co_u32_e64 v13, s[0:1], 0, v10, s[0:1]
	v_add_co_u32_e64 v14, s[0:1], 1, v4
	v_addc_co_u32_e64 v15, s[0:1], 0, v10, s[0:1]
	v_subb_co_u32_e32 v8, vcc, v6, v8, vcc
	v_cmp_ne_u32_e64 s[0:1], 0, v11
	v_cmp_le_u32_e32 vcc, s19, v8
	v_cndmask_b32_e64 v11, v15, v13, s[0:1]
	v_cndmask_b32_e64 v13, 0, -1, vcc
	v_cmp_le_u32_e32 vcc, s18, v7
	v_cndmask_b32_e64 v7, 0, -1, vcc
	v_cmp_eq_u32_e32 vcc, s19, v8
	v_cndmask_b32_e32 v7, v13, v7, vcc
	v_cmp_ne_u32_e32 vcc, 0, v7
	v_cndmask_b32_e64 v7, v14, v12, s[0:1]
	v_cndmask_b32_e32 v8, v10, v11, vcc
	v_cndmask_b32_e32 v7, v4, v7, vcc
.LBB0_4:                                ;   in Loop: Header=BB0_2 Depth=1
	s_andn2_saveexec_b64 s[0:1], s[20:21]
	s_cbranch_execz .LBB0_6
; %bb.5:                                ;   in Loop: Header=BB0_2 Depth=1
	v_cvt_f32_u32_e32 v4, s18
	s_sub_i32 s20, 0, s18
	v_rcp_iflag_f32_e32 v4, v4
	v_mul_f32_e32 v4, 0x4f7ffffe, v4
	v_cvt_u32_f32_e32 v4, v4
	v_mul_lo_u32 v7, s20, v4
	v_mul_hi_u32 v7, v4, v7
	v_add_u32_e32 v4, v4, v7
	v_mul_hi_u32 v4, v5, v4
	v_mul_lo_u32 v7, v4, s18
	v_add_u32_e32 v8, 1, v4
	v_sub_u32_e32 v7, v5, v7
	v_subrev_u32_e32 v10, s18, v7
	v_cmp_le_u32_e32 vcc, s18, v7
	v_cndmask_b32_e32 v7, v7, v10, vcc
	v_cndmask_b32_e32 v4, v4, v8, vcc
	v_add_u32_e32 v8, 1, v4
	v_cmp_le_u32_e32 vcc, s18, v7
	v_cndmask_b32_e32 v7, v4, v8, vcc
	v_mov_b32_e32 v8, v3
.LBB0_6:                                ;   in Loop: Header=BB0_2 Depth=1
	s_or_b64 exec, exec, s[0:1]
	v_mul_lo_u32 v4, v8, s18
	v_mul_lo_u32 v12, v7, s19
	v_mad_u64_u32 v[10:11], s[0:1], v7, s18, 0
	s_load_dwordx2 s[0:1], s[6:7], 0x0
	s_add_u32 s16, s16, 1
	v_add3_u32 v4, v11, v12, v4
	v_sub_co_u32_e32 v5, vcc, v5, v10
	v_subb_co_u32_e32 v4, vcc, v6, v4, vcc
	s_waitcnt lgkmcnt(0)
	v_mul_lo_u32 v4, s0, v4
	v_mul_lo_u32 v6, s1, v5
	v_mad_u64_u32 v[1:2], s[0:1], s0, v5, v[1:2]
	s_addc_u32 s17, s17, 0
	s_add_u32 s6, s6, 8
	v_add3_u32 v2, v6, v2, v4
	v_mov_b32_e32 v4, s10
	v_mov_b32_e32 v5, s11
	s_addc_u32 s7, s7, 0
	v_cmp_ge_u64_e32 vcc, s[16:17], v[4:5]
	s_add_u32 s14, s14, 8
	s_addc_u32 s15, s15, 0
	s_cbranch_vccnz .LBB0_9
; %bb.7:                                ;   in Loop: Header=BB0_2 Depth=1
	v_mov_b32_e32 v5, v7
	v_mov_b32_e32 v6, v8
	s_branch .LBB0_2
.LBB0_8:
	v_mov_b32_e32 v8, v6
	v_mov_b32_e32 v7, v5
.LBB0_9:
	s_lshl_b64 s[0:1], s[10:11], 3
	s_add_u32 s0, s12, s0
	s_addc_u32 s1, s13, s1
	s_load_dwordx2 s[6:7], s[0:1], 0x0
	s_load_dwordx2 s[10:11], s[4:5], 0x20
	v_and_b32_e32 v5, 1, v9
	v_mov_b32_e32 v6, 0x319
	v_cmp_eq_u32_e32 vcc, 1, v5
	s_waitcnt lgkmcnt(0)
	v_mul_lo_u32 v3, s6, v8
	v_mul_lo_u32 v4, s7, v7
	v_mad_u64_u32 v[1:2], s[0:1], s6, v7, v[1:2]
	s_mov_b32 s0, 0x2e8ba2f
	v_cndmask_b32_e32 v6, 0, v6, vcc
	v_add3_u32 v2, v4, v2, v3
	v_mul_hi_u32 v3, v0, s0
	v_cmp_gt_u64_e32 vcc, s[10:11], v[7:8]
	v_lshlrev_b32_e32 v16, 2, v6
	v_mul_u32_u24_e32 v3, 0x58, v3
	v_sub_u32_e32 v0, v0, v3
	v_lshlrev_b64 v[2:3], 2, v[1:2]
	s_and_saveexec_b64 s[4:5], vcc
	s_cbranch_execz .LBB0_13
; %bb.10:
	v_mov_b32_e32 v1, 0
	v_mov_b32_e32 v5, s3
	v_add_co_u32_e64 v4, s[0:1], s2, v2
	v_lshlrev_b64 v[7:8], 2, v[0:1]
	v_addc_co_u32_e64 v5, s[0:1], v5, v3, s[0:1]
	v_add_co_u32_e64 v7, s[0:1], v4, v7
	v_addc_co_u32_e64 v8, s[0:1], v5, v8, s[0:1]
	global_load_dword v9, v[7:8], off
	global_load_dword v10, v[7:8], off offset:352
	global_load_dword v11, v[7:8], off offset:704
	;; [unrolled: 1-line block ×8, first 2 shown]
	v_lshlrev_b32_e32 v1, 2, v0
	s_movk_i32 s0, 0x57
	v_add3_u32 v1, 0, v16, v1
	v_cmp_eq_u32_e64 s[0:1], s0, v0
	v_add_u32_e32 v7, 0x200, v1
	v_add_u32_e32 v8, 0x400, v1
	;; [unrolled: 1-line block ×3, first 2 shown]
	s_waitcnt vmcnt(7)
	ds_write2_b32 v1, v9, v10 offset1:88
	s_waitcnt vmcnt(5)
	ds_write2_b32 v7, v11, v12 offset0:48 offset1:136
	s_waitcnt vmcnt(3)
	ds_write2_b32 v8, v13, v14 offset0:96 offset1:184
	;; [unrolled: 2-line block ×3, first 2 shown]
	s_waitcnt vmcnt(0)
	ds_write_b32 v1, v18 offset:2816
	s_and_saveexec_b64 s[6:7], s[0:1]
	s_cbranch_execz .LBB0_12
; %bb.11:
	global_load_dword v0, v[4:5], off offset:3168
	s_waitcnt vmcnt(0)
	ds_write_b32 v1, v0 offset:2820
	v_mov_b32_e32 v0, 0x57
.LBB0_12:
	s_or_b64 exec, exec, s[6:7]
.LBB0_13:
	s_or_b64 exec, exec, s[4:5]
	v_lshl_add_u32 v14, v6, 2, 0
	v_lshlrev_b32_e32 v6, 2, v0
	v_add_u32_e32 v15, v14, v6
	s_waitcnt lgkmcnt(0)
	s_barrier
	v_sub_u32_e32 v7, v14, v6
	ds_read_u16 v10, v15
	ds_read_u16 v11, v7 offset:3168
	v_cmp_ne_u32_e64 s[0:1], 0, v0
                                        ; implicit-def: $vgpr4_vgpr5
	s_waitcnt lgkmcnt(0)
	v_add_f16_e32 v8, v11, v10
	v_sub_f16_e32 v9, v10, v11
	s_and_saveexec_b64 s[4:5], s[0:1]
	s_xor_b64 s[4:5], exec, s[4:5]
	s_cbranch_execz .LBB0_15
; %bb.14:
	v_mov_b32_e32 v1, 0
	v_lshlrev_b64 v[4:5], 2, v[0:1]
	v_mov_b32_e32 v8, s9
	v_add_co_u32_e64 v4, s[0:1], s8, v4
	v_addc_co_u32_e64 v5, s[0:1], v8, v5, s[0:1]
	global_load_dword v4, v[4:5], off offset:3160
	ds_read_u16 v5, v7 offset:3170
	ds_read_u16 v8, v15 offset:2
	v_add_f16_e32 v9, v11, v10
	v_sub_f16_e32 v10, v10, v11
	s_waitcnt lgkmcnt(0)
	v_add_f16_e32 v11, v5, v8
	v_sub_f16_e32 v5, v8, v5
	s_waitcnt vmcnt(0)
	v_lshrrev_b32_e32 v8, 16, v4
	v_fma_f16 v12, v10, v8, v9
	v_fma_f16 v13, v11, v8, v5
	v_fma_f16 v17, -v10, v8, v9
	v_fma_f16 v5, v11, v8, -v5
	v_fma_f16 v8, -v4, v11, v12
	v_fma_f16 v9, v10, v4, v13
	v_fma_f16 v11, v4, v11, v17
	;; [unrolled: 1-line block ×3, first 2 shown]
	v_pack_b32_f16 v4, v11, v4
	ds_write_b32 v7, v4 offset:3168
	v_mov_b32_e32 v5, v1
	v_mov_b32_e32 v4, v0
.LBB0_15:
	s_andn2_saveexec_b64 s[0:1], s[4:5]
	s_cbranch_execz .LBB0_17
; %bb.16:
	ds_read_b32 v1, v14 offset:1584
	s_mov_b32 s4, 0xc0004000
	v_mov_b32_e32 v4, 0
	v_mov_b32_e32 v5, 0
	s_waitcnt lgkmcnt(0)
	v_pk_mul_f16 v1, v1, s4
	ds_write_b32 v14, v1 offset:1584
.LBB0_17:
	s_or_b64 exec, exec, s[0:1]
	s_add_u32 s0, s8, 0xc58
	v_lshlrev_b64 v[4:5], 2, v[4:5]
	s_addc_u32 s1, s9, 0
	v_mov_b32_e32 v1, s1
	v_add_co_u32_e64 v4, s[0:1], s0, v4
	v_addc_co_u32_e64 v5, s[0:1], v1, v5, s[0:1]
	global_load_dword v1, v[4:5], off offset:352
	global_load_dword v10, v[4:5], off offset:704
	;; [unrolled: 1-line block ×3, first 2 shown]
	s_mov_b32 s0, 0x5040100
	v_perm_b32 v8, v9, v8, s0
	ds_write_b32 v15, v8
	ds_read_b32 v8, v15 offset:352
	ds_read_b32 v9, v7 offset:2816
	v_cmp_gt_u32_e64 s[0:1], 44, v0
	s_waitcnt lgkmcnt(0)
	v_add_f16_e32 v12, v8, v9
	v_add_f16_sdwa v13, v9, v8 dst_sel:DWORD dst_unused:UNUSED_PAD src0_sel:WORD_1 src1_sel:WORD_1
	v_sub_f16_e32 v17, v8, v9
	v_sub_f16_sdwa v8, v8, v9 dst_sel:DWORD dst_unused:UNUSED_PAD src0_sel:WORD_1 src1_sel:WORD_1
	s_waitcnt vmcnt(2)
	v_lshrrev_b32_e32 v9, 16, v1
	v_fma_f16 v18, v17, v9, v12
	v_fma_f16 v19, v13, v9, v8
	v_fma_f16 v12, -v17, v9, v12
	v_fma_f16 v8, v13, v9, -v8
	v_fma_f16 v9, -v1, v13, v18
	v_fma_f16 v18, v17, v1, v19
	v_fma_f16 v12, v1, v13, v12
	;; [unrolled: 1-line block ×3, first 2 shown]
	v_pack_b32_f16 v8, v9, v18
	v_pack_b32_f16 v1, v12, v1
	ds_write_b32 v15, v8 offset:352
	ds_write_b32 v7, v1 offset:2816
	ds_read_b32 v1, v15 offset:704
	ds_read_b32 v8, v7 offset:2464
	s_waitcnt vmcnt(1)
	v_lshrrev_b32_e32 v9, 16, v10
	s_waitcnt lgkmcnt(0)
	v_add_f16_e32 v12, v1, v8
	v_add_f16_sdwa v13, v8, v1 dst_sel:DWORD dst_unused:UNUSED_PAD src0_sel:WORD_1 src1_sel:WORD_1
	v_sub_f16_e32 v17, v1, v8
	v_sub_f16_sdwa v1, v1, v8 dst_sel:DWORD dst_unused:UNUSED_PAD src0_sel:WORD_1 src1_sel:WORD_1
	v_fma_f16 v8, v17, v9, v12
	v_fma_f16 v18, v13, v9, v1
	v_fma_f16 v12, -v17, v9, v12
	v_fma_f16 v1, v13, v9, -v1
	v_fma_f16 v8, -v10, v13, v8
	v_fma_f16 v9, v17, v10, v18
	v_fma_f16 v12, v10, v13, v12
	;; [unrolled: 1-line block ×3, first 2 shown]
	v_pack_b32_f16 v8, v8, v9
	v_pack_b32_f16 v1, v12, v1
	ds_write_b32 v15, v8 offset:704
	ds_write_b32 v7, v1 offset:2464
	ds_read_b32 v1, v15 offset:1056
	ds_read_b32 v8, v7 offset:2112
	s_waitcnt vmcnt(0)
	v_lshrrev_b32_e32 v9, 16, v11
	s_waitcnt lgkmcnt(0)
	v_add_f16_e32 v10, v1, v8
	v_add_f16_sdwa v12, v8, v1 dst_sel:DWORD dst_unused:UNUSED_PAD src0_sel:WORD_1 src1_sel:WORD_1
	v_sub_f16_e32 v13, v1, v8
	v_sub_f16_sdwa v1, v1, v8 dst_sel:DWORD dst_unused:UNUSED_PAD src0_sel:WORD_1 src1_sel:WORD_1
	v_fma_f16 v8, v13, v9, v10
	v_fma_f16 v17, v12, v9, v1
	v_fma_f16 v10, -v13, v9, v10
	v_fma_f16 v1, v12, v9, -v1
	v_fma_f16 v8, -v11, v12, v8
	v_fma_f16 v9, v13, v11, v17
	v_fma_f16 v10, v11, v12, v10
	;; [unrolled: 1-line block ×3, first 2 shown]
	v_pack_b32_f16 v8, v8, v9
	v_pack_b32_f16 v1, v10, v1
	ds_write_b32 v15, v8 offset:1056
	ds_write_b32 v7, v1 offset:2112
	s_and_saveexec_b64 s[4:5], s[0:1]
	s_cbranch_execz .LBB0_19
; %bb.18:
	global_load_dword v1, v[4:5], off offset:1408
	ds_read_b32 v4, v15 offset:1408
	ds_read_b32 v5, v7 offset:1760
	s_waitcnt lgkmcnt(0)
	v_add_f16_e32 v8, v4, v5
	v_add_f16_sdwa v9, v5, v4 dst_sel:DWORD dst_unused:UNUSED_PAD src0_sel:WORD_1 src1_sel:WORD_1
	v_sub_f16_e32 v10, v4, v5
	v_sub_f16_sdwa v4, v4, v5 dst_sel:DWORD dst_unused:UNUSED_PAD src0_sel:WORD_1 src1_sel:WORD_1
	s_waitcnt vmcnt(0)
	v_lshrrev_b32_e32 v5, 16, v1
	v_fma_f16 v11, v10, v5, v8
	v_fma_f16 v12, v9, v5, v4
	v_fma_f16 v8, -v10, v5, v8
	v_fma_f16 v4, v9, v5, -v4
	v_fma_f16 v5, -v1, v9, v11
	v_fma_f16 v11, v10, v1, v12
	v_fma_f16 v8, v1, v9, v8
	;; [unrolled: 1-line block ×3, first 2 shown]
	v_pack_b32_f16 v4, v5, v11
	v_pack_b32_f16 v1, v8, v1
	ds_write_b32 v15, v4 offset:1408
	ds_write_b32 v7, v1 offset:1760
.LBB0_19:
	s_or_b64 exec, exec, s[4:5]
	v_add3_u32 v1, 0, v6, v16
	s_waitcnt lgkmcnt(0)
	s_barrier
	s_barrier
	v_add_u32_e32 v4, 0x400, v1
	ds_read_b32 v9, v1 offset:2992
	ds_read_b32 v5, v15
	ds_read2_b32 v[7:8], v4 offset0:140 offset1:228
	v_add_u32_e32 v10, v1, v6
	v_add_u32_e32 v17, 0x800, v1
	ds_read2_b32 v[21:22], v4 offset0:8 offset1:96
	ds_read2_b32 v[23:24], v17 offset0:60 offset1:148
	s_waitcnt lgkmcnt(2)
	v_pk_add_f16 v7, v5, v7 neg_lo:[0,1] neg_hi:[0,1]
	v_pk_fma_f16 v13, v5, 2.0, v7 op_sel_hi:[1,0,1] neg_lo:[0,0,1] neg_hi:[0,0,1]
	ds_read2_b32 v[5:6], v1 offset0:88 offset1:176
	v_add_u32_e32 v12, 0x58, v0
	s_waitcnt lgkmcnt(0)
	s_barrier
	ds_write2_b32 v10, v13, v7 offset1:1
	v_lshlrev_b32_e32 v7, 3, v12
	v_pk_add_f16 v8, v5, v8 neg_lo:[0,1] neg_hi:[0,1]
	v_add_u32_e32 v11, 0xb0, v0
	v_add3_u32 v7, 0, v7, v16
	v_pk_fma_f16 v5, v5, 2.0, v8 op_sel_hi:[1,0,1] neg_lo:[0,0,1] neg_hi:[0,0,1]
	v_add_u32_e32 v18, 0x108, v0
	v_pk_add_f16 v20, v22, v9 neg_lo:[0,1] neg_hi:[0,1]
	ds_write2_b32 v7, v5, v8 offset1:1
	v_lshlrev_b32_e32 v5, 3, v11
	v_pk_add_f16 v7, v6, v23 neg_lo:[0,1] neg_hi:[0,1]
	v_add_u32_e32 v10, 0x160, v0
	v_pk_fma_f16 v19, v22, 2.0, v20 op_sel_hi:[1,0,1] neg_lo:[0,0,1] neg_hi:[0,0,1]
	v_add3_u32 v5, 0, v5, v16
	v_pk_fma_f16 v6, v6, 2.0, v7 op_sel_hi:[1,0,1] neg_lo:[0,0,1] neg_hi:[0,0,1]
	v_lshlrev_b32_e32 v8, 3, v18
	v_pk_add_f16 v9, v21, v24 neg_lo:[0,1] neg_hi:[0,1]
	v_add3_u32 v8, 0, v8, v16
	v_pk_fma_f16 v13, v21, 2.0, v9 op_sel_hi:[1,0,1] neg_lo:[0,0,1] neg_hi:[0,0,1]
	ds_write2_b32 v5, v6, v7 offset1:1
	ds_write2_b32 v8, v13, v9 offset1:1
	s_and_saveexec_b64 s[4:5], s[0:1]
	s_cbranch_execz .LBB0_21
; %bb.20:
	v_lshlrev_b32_e32 v5, 3, v10
	v_add3_u32 v5, 0, v5, v16
	ds_write2_b32 v5, v19, v20 offset1:1
.LBB0_21:
	s_or_b64 exec, exec, s[4:5]
	v_add_u32_e32 v8, 0x600, v1
	s_waitcnt lgkmcnt(0)
	s_barrier
	ds_read2_b32 v[6:7], v4 offset0:8 offset1:140
	ds_read2_b32 v[4:5], v1 offset0:88 offset1:176
	;; [unrolled: 1-line block ×3, first 2 shown]
	ds_read_b32 v22, v15
	ds_read_b32 v23, v1 offset:2640
	v_lshlrev_b32_e32 v13, 1, v12
	v_lshlrev_b32_e32 v17, 1, v11
	v_lshlrev_b32_e32 v18, 1, v18
	v_lshrrev_b32_e32 v25, 16, v20
	s_and_saveexec_b64 s[4:5], s[0:1]
	s_cbranch_execz .LBB0_23
; %bb.22:
	ds_read_b32 v20, v1 offset:2992
	ds_read_b32 v19, v1 offset:1408
	s_waitcnt lgkmcnt(1)
	v_lshrrev_b32_e32 v25, 16, v20
.LBB0_23:
	s_or_b64 exec, exec, s[4:5]
	v_and_b32_e32 v24, 1, v0
	v_lshlrev_b32_e32 v21, 2, v24
	global_load_dword v26, v21, s[8:9]
	s_mov_b32 s4, 0xffff
	s_movk_i32 s5, 0xfc
	v_lshlrev_b32_e32 v21, 1, v0
	s_movk_i32 s7, 0x1fc
	s_movk_i32 s6, 0x3fc
	v_and_or_b32 v28, v21, s5, v24
	s_waitcnt lgkmcnt(0)
	v_lshrrev_b32_e32 v27, 16, v19
	v_and_or_b32 v29, v13, s7, v24
	v_and_or_b32 v30, v17, s6, v24
	;; [unrolled: 1-line block ×3, first 2 shown]
	v_lshlrev_b32_e32 v28, 2, v28
	v_lshlrev_b32_e32 v29, 2, v29
	;; [unrolled: 1-line block ×4, first 2 shown]
	v_add3_u32 v28, 0, v28, v16
	s_waitcnt vmcnt(0)
	s_barrier
	v_add3_u32 v29, 0, v29, v16
	v_add3_u32 v30, 0, v30, v16
	;; [unrolled: 1-line block ×3, first 2 shown]
	v_pk_mul_f16 v32, v26, v7 op_sel:[0,1]
	v_pk_mul_f16 v33, v26, v8 op_sel:[0,1]
	;; [unrolled: 1-line block ×4, first 2 shown]
	v_pk_fma_f16 v38, v26, v7, v32 op_sel:[0,0,1] op_sel_hi:[1,1,0]
	v_pk_fma_f16 v7, v26, v7, v32 op_sel:[0,0,1] op_sel_hi:[1,0,0] neg_lo:[1,0,0] neg_hi:[1,0,0]
	v_mul_f16_sdwa v36, v25, v26 dst_sel:DWORD dst_unused:UNUSED_PAD src0_sel:DWORD src1_sel:WORD_1
	v_mul_f16_sdwa v37, v20, v26 dst_sel:DWORD dst_unused:UNUSED_PAD src0_sel:DWORD src1_sel:WORD_1
	v_pk_fma_f16 v32, v26, v8, v33 op_sel:[0,0,1] op_sel_hi:[1,1,0]
	v_pk_fma_f16 v8, v26, v8, v33 op_sel:[0,0,1] op_sel_hi:[1,0,0] neg_lo:[1,0,0] neg_hi:[1,0,0]
	v_pk_fma_f16 v33, v26, v9, v34 op_sel:[0,0,1] op_sel_hi:[1,1,0]
	v_pk_fma_f16 v9, v26, v9, v34 op_sel:[0,0,1] op_sel_hi:[1,0,0] neg_lo:[1,0,0] neg_hi:[1,0,0]
	;; [unrolled: 2-line block ×3, first 2 shown]
	v_bfi_b32 v7, s4, v38, v7
	v_fma_f16 v20, v20, v26, v36
	v_fma_f16 v25, v25, v26, -v37
	v_bfi_b32 v8, s4, v32, v8
	v_bfi_b32 v26, s4, v34, v23
	;; [unrolled: 1-line block ×3, first 2 shown]
	v_pk_add_f16 v7, v22, v7 neg_lo:[0,1] neg_hi:[0,1]
	v_sub_f16_e32 v23, v19, v20
	v_sub_f16_e32 v25, v27, v25
	v_pk_add_f16 v8, v4, v8 neg_lo:[0,1] neg_hi:[0,1]
	v_pk_add_f16 v26, v6, v26 neg_lo:[0,1] neg_hi:[0,1]
	;; [unrolled: 1-line block ×3, first 2 shown]
	v_pk_fma_f16 v22, v22, 2.0, v7 op_sel_hi:[1,0,1] neg_lo:[0,0,1] neg_hi:[0,0,1]
	v_fma_f16 v19, v19, 2.0, -v23
	v_fma_f16 v20, v27, 2.0, -v25
	v_pk_fma_f16 v4, v4, 2.0, v8 op_sel_hi:[1,0,1] neg_lo:[0,0,1] neg_hi:[0,0,1]
	v_pk_fma_f16 v6, v6, 2.0, v26 op_sel_hi:[1,0,1] neg_lo:[0,0,1] neg_hi:[0,0,1]
	;; [unrolled: 1-line block ×3, first 2 shown]
	ds_write2_b32 v28, v22, v7 offset1:2
	ds_write2_b32 v29, v4, v8 offset1:2
	;; [unrolled: 1-line block ×4, first 2 shown]
	v_lshlrev_b32_e32 v22, 1, v10
	s_and_saveexec_b64 s[4:5], s[0:1]
	s_cbranch_execz .LBB0_25
; %bb.24:
	v_and_or_b32 v4, v22, s6, v24
	v_lshlrev_b32_e32 v4, 2, v4
	s_mov_b32 s6, 0x5040100
	v_add3_u32 v4, 0, v4, v16
	v_perm_b32 v5, v20, v19, s6
	v_perm_b32 v6, v25, v23, s6
	ds_write2_b32 v4, v5, v6 offset1:2
.LBB0_25:
	s_or_b64 exec, exec, s[4:5]
	v_add_u32_e32 v4, 0x400, v1
	s_waitcnt lgkmcnt(0)
	s_barrier
	ds_read2_b32 v[7:8], v4 offset0:8 offset1:140
	ds_read2_b32 v[5:6], v1 offset0:88 offset1:176
	v_add_u32_e32 v4, 0x600, v1
	ds_read2_b32 v[9:10], v4 offset0:100 offset1:188
	ds_read_b32 v24, v15
	ds_read_b32 v4, v1 offset:2640
	s_and_saveexec_b64 s[4:5], s[0:1]
	s_cbranch_execz .LBB0_27
; %bb.26:
	ds_read_b32 v19, v1 offset:1408
	ds_read_b32 v23, v1 offset:2992
	s_waitcnt lgkmcnt(1)
	v_lshrrev_b32_e32 v20, 16, v19
	s_waitcnt lgkmcnt(0)
	v_lshrrev_b32_e32 v25, 16, v23
.LBB0_27:
	s_or_b64 exec, exec, s[4:5]
	v_and_b32_e32 v26, 3, v0
	v_lshlrev_b32_e32 v27, 2, v26
	global_load_dword v27, v27, s[8:9] offset:8
	s_movk_i32 s6, 0x3f8
	v_and_or_b32 v17, v17, s6, v26
	v_lshlrev_b32_e32 v17, 2, v17
	v_add3_u32 v28, 0, v17, v16
	s_movk_i32 s4, 0xf8
	s_mov_b32 s7, 0xffff
	s_movk_i32 s5, 0x1f8
	v_and_or_b32 v21, v21, s4, v26
	v_and_or_b32 v13, v13, s5, v26
	;; [unrolled: 1-line block ×3, first 2 shown]
	v_lshlrev_b32_e32 v21, 2, v21
	v_lshlrev_b32_e32 v13, 2, v13
	;; [unrolled: 1-line block ×3, first 2 shown]
	v_add3_u32 v21, 0, v21, v16
	s_waitcnt vmcnt(0) lgkmcnt(0)
	s_barrier
	v_add3_u32 v13, 0, v13, v16
	v_add3_u32 v18, 0, v18, v16
	v_pk_mul_f16 v17, v27, v4 op_sel:[0,1]
	v_mul_f16_sdwa v29, v25, v27 dst_sel:DWORD dst_unused:UNUSED_PAD src0_sel:DWORD src1_sel:WORD_1
	v_mul_f16_sdwa v30, v23, v27 dst_sel:DWORD dst_unused:UNUSED_PAD src0_sel:DWORD src1_sel:WORD_1
	v_pk_mul_f16 v31, v27, v8 op_sel:[0,1]
	v_pk_mul_f16 v32, v27, v9 op_sel:[0,1]
	;; [unrolled: 1-line block ×3, first 2 shown]
	v_pk_fma_f16 v34, v27, v4, v17 op_sel:[0,0,1] op_sel_hi:[1,1,0]
	v_pk_fma_f16 v4, v27, v4, v17 op_sel:[0,0,1] op_sel_hi:[1,0,0] neg_lo:[1,0,0] neg_hi:[1,0,0]
	v_fma_f16 v17, v23, v27, v29
	v_fma_f16 v23, v25, v27, -v30
	v_pk_fma_f16 v25, v27, v8, v31 op_sel:[0,0,1] op_sel_hi:[1,1,0]
	v_pk_fma_f16 v8, v27, v8, v31 op_sel:[0,0,1] op_sel_hi:[1,0,0] neg_lo:[1,0,0] neg_hi:[1,0,0]
	v_pk_fma_f16 v29, v27, v9, v32 op_sel:[0,0,1] op_sel_hi:[1,1,0]
	v_pk_fma_f16 v9, v27, v9, v32 op_sel:[0,0,1] op_sel_hi:[1,0,0] neg_lo:[1,0,0] neg_hi:[1,0,0]
	;; [unrolled: 2-line block ×3, first 2 shown]
	v_bfi_b32 v8, s7, v25, v8
	v_bfi_b32 v27, s7, v34, v4
	;; [unrolled: 1-line block ×4, first 2 shown]
	v_pk_add_f16 v8, v24, v8 neg_lo:[0,1] neg_hi:[0,1]
	v_sub_f16_e32 v4, v19, v17
	v_sub_f16_e32 v17, v20, v23
	v_pk_add_f16 v23, v7, v27 neg_lo:[0,1] neg_hi:[0,1]
	v_pk_add_f16 v9, v5, v9 neg_lo:[0,1] neg_hi:[0,1]
	v_pk_add_f16 v10, v6, v10 neg_lo:[0,1] neg_hi:[0,1]
	v_pk_fma_f16 v24, v24, 2.0, v8 op_sel_hi:[1,0,1] neg_lo:[0,0,1] neg_hi:[0,0,1]
	v_pk_fma_f16 v7, v7, 2.0, v23 op_sel_hi:[1,0,1] neg_lo:[0,0,1] neg_hi:[0,0,1]
	;; [unrolled: 1-line block ×4, first 2 shown]
	ds_write2_b32 v21, v24, v8 offset1:4
	ds_write2_b32 v13, v5, v9 offset1:4
	;; [unrolled: 1-line block ×4, first 2 shown]
	s_and_saveexec_b64 s[4:5], s[0:1]
	s_cbranch_execz .LBB0_29
; %bb.28:
	v_and_or_b32 v7, v22, s6, v26
	v_fma_f16 v5, v19, 2.0, -v4
	v_fma_f16 v6, v20, 2.0, -v17
	v_lshlrev_b32_e32 v7, 2, v7
	s_mov_b32 s0, 0x5040100
	v_add3_u32 v7, 0, v7, v16
	v_pack_b32_f16 v5, v5, v6
	v_perm_b32 v6, v17, v4, s0
	ds_write2_b32 v7, v5, v6 offset1:4
.LBB0_29:
	s_or_b64 exec, exec, s[4:5]
	v_and_b32_e32 v10, 7, v0
	v_lshlrev_b32_e32 v5, 3, v10
	s_waitcnt lgkmcnt(0)
	s_barrier
	global_load_dwordx2 v[6:7], v5, s[8:9] offset:24
	v_add_u32_e32 v20, 0x400, v1
	v_add_u32_e32 v21, 0x600, v1
	;; [unrolled: 1-line block ×3, first 2 shown]
	ds_read2_b32 v[8:9], v1 offset0:88 offset1:176
	ds_read_b32 v13, v15
	ds_read2_b32 v[18:19], v20 offset0:8 offset1:96
	ds_read2_b32 v[22:23], v21 offset0:56 offset1:144
	;; [unrolled: 1-line block ×3, first 2 shown]
	s_mov_b32 s0, 0xbaee
	s_movk_i32 s1, 0x3aee
	s_waitcnt lgkmcnt(2)
	v_lshrrev_b32_e32 v29, 16, v18
	s_waitcnt lgkmcnt(1)
	v_lshrrev_b32_e32 v30, 16, v23
	v_lshrrev_b32_e32 v31, 16, v19
	s_waitcnt lgkmcnt(0)
	v_lshrrev_b32_e32 v32, 16, v24
	v_lshrrev_b32_e32 v33, 16, v22
	;; [unrolled: 1-line block ×6, first 2 shown]
	s_waitcnt vmcnt(0)
	s_barrier
	s_movk_i32 s4, 0xab
	v_mul_f16_sdwa v35, v6, v29 dst_sel:DWORD dst_unused:UNUSED_PAD src0_sel:WORD_1 src1_sel:DWORD
	v_mul_f16_sdwa v36, v6, v18 dst_sel:DWORD dst_unused:UNUSED_PAD src0_sel:WORD_1 src1_sel:DWORD
	;; [unrolled: 1-line block ×12, first 2 shown]
	v_fma_f16 v18, v6, v18, v35
	v_fma_f16 v19, v6, v19, v39
	;; [unrolled: 1-line block ×4, first 2 shown]
	v_fma_f16 v29, v6, v29, -v36
	v_fma_f16 v24, v7, v24, v41
	v_fma_f16 v25, v7, v25, v45
	v_fma_f16 v30, v7, v30, -v38
	v_fma_f16 v31, v6, v31, -v40
	;; [unrolled: 1-line block ×5, first 2 shown]
	v_sub_f16_e32 v43, v6, v7
	v_add_f16_e32 v44, v27, v6
	v_add_f16_e32 v6, v6, v7
	;; [unrolled: 1-line block ×4, first 2 shown]
	v_sub_f16_e32 v41, v31, v32
	v_add_f16_e32 v42, v26, v31
	v_add_f16_e32 v31, v31, v32
	v_fma_f16 v6, v6, -0.5, v27
	v_sub_f16_e32 v22, v22, v25
	v_fma_f16 v26, v31, -0.5, v26
	v_add_f16_e32 v31, v37, v25
	v_fma_f16 v25, v22, s1, v6
	v_fma_f16 v6, v22, s0, v6
	v_lshrrev_b32_e32 v22, 3, v0
	v_add_f16_e32 v38, v18, v23
	v_sub_f16_e32 v39, v29, v30
	v_add_f16_e32 v40, v28, v29
	v_add_f16_e32 v29, v29, v30
	v_mul_u32_u24_e32 v22, 24, v22
	v_add_f16_e32 v33, v13, v18
	v_sub_f16_e32 v18, v18, v23
	v_fma_f16 v13, v38, -0.5, v13
	v_fma_f16 v28, v29, -0.5, v28
	v_or_b32_e32 v22, v22, v10
	v_add_f16_e32 v23, v33, v23
	v_add_f16_e32 v29, v42, v32
	v_fma_f16 v32, v39, s0, v13
	v_fma_f16 v13, v39, s1, v13
	;; [unrolled: 1-line block ×4, first 2 shown]
	v_lshlrev_b32_e32 v22, 2, v22
	v_add3_u32 v22, 0, v22, v16
	v_pack_b32_f16 v13, v13, v18
	ds_write_b32 v22, v13 offset:64
	v_lshrrev_b32_e32 v13, 3, v12
	v_add_f16_e32 v35, v19, v24
	v_mul_u32_u24_e32 v13, 24, v13
	v_add_f16_e32 v34, v8, v19
	v_sub_f16_e32 v19, v19, v24
	v_fma_f16 v8, v35, -0.5, v8
	v_or_b32_e32 v13, v13, v10
	v_add_f16_e32 v30, v40, v30
	v_add_f16_e32 v24, v34, v24
	v_fma_f16 v28, v41, s0, v8
	v_fma_f16 v8, v41, s1, v8
	;; [unrolled: 1-line block ×4, first 2 shown]
	v_lshlrev_b32_e32 v13, 2, v13
	v_pack_b32_f16 v23, v23, v30
	v_pack_b32_f16 v27, v32, v33
	v_add3_u32 v13, 0, v13, v16
	v_pack_b32_f16 v8, v8, v19
	ds_write2_b32 v22, v23, v27 offset1:8
	ds_write_b32 v13, v8 offset:64
	v_lshrrev_b32_e32 v8, 3, v11
	v_mul_u32_u24_e32 v8, 24, v8
	v_fma_f16 v9, v36, -0.5, v9
	v_or_b32_e32 v8, v8, v10
	v_fma_f16 v26, v43, s0, v9
	v_fma_f16 v9, v43, s1, v9
	v_lshlrev_b32_e32 v8, 2, v8
	v_add_f16_e32 v7, v44, v7
	v_pack_b32_f16 v18, v24, v29
	v_pack_b32_f16 v22, v28, v34
	v_add3_u32 v8, 0, v8, v16
	v_pack_b32_f16 v6, v9, v6
	ds_write2_b32 v13, v18, v22 offset1:8
	v_pack_b32_f16 v7, v31, v7
	v_pack_b32_f16 v10, v26, v25
	ds_write_b32 v8, v6 offset:64
	v_mul_lo_u16_sdwa v6, v0, s4 dst_sel:DWORD dst_unused:UNUSED_PAD src0_sel:BYTE_0 src1_sel:DWORD
	ds_write2_b32 v8, v7, v10 offset1:8
	v_lshrrev_b16_e32 v24, 12, v6
	v_mul_lo_u16_sdwa v7, v12, s4 dst_sel:DWORD dst_unused:UNUSED_PAD src0_sel:BYTE_0 src1_sel:DWORD
	v_mul_lo_u16_e32 v6, 24, v24
	v_lshrrev_b16_e32 v30, 12, v7
	s_mov_b32 s4, 0xaaab
	v_sub_u16_e32 v25, v0, v6
	v_mov_b32_e32 v8, 3
	v_mul_lo_u16_e32 v9, 24, v30
	v_mul_u32_u24_sdwa v10, v11, s4 dst_sel:DWORD dst_unused:UNUSED_PAD src0_sel:WORD_0 src1_sel:DWORD
	v_lshlrev_b32_sdwa v6, v8, v25 dst_sel:DWORD dst_unused:UNUSED_PAD src0_sel:DWORD src1_sel:BYTE_0
	v_sub_u16_e32 v31, v12, v9
	v_lshrrev_b32_e32 v32, 20, v10
	s_waitcnt lgkmcnt(0)
	s_barrier
	global_load_dwordx2 v[6:7], v6, s[8:9] offset:88
	v_lshlrev_b32_sdwa v8, v8, v31 dst_sel:DWORD dst_unused:UNUSED_PAD src0_sel:DWORD src1_sel:BYTE_0
	global_load_dwordx2 v[8:9], v8, s[8:9] offset:88
	v_mul_lo_u16_e32 v10, 24, v32
	v_sub_u16_e32 v33, v11, v10
	v_lshlrev_b32_e32 v10, 3, v33
	global_load_dwordx2 v[10:11], v10, s[8:9] offset:88
	ds_read2_b32 v[12:13], v5 offset0:104 offset1:192
	ds_read2_b32 v[18:19], v20 offset0:8 offset1:96
	;; [unrolled: 1-line block ×3, first 2 shown]
	ds_read_b32 v26, v15
	s_movk_i32 s4, 0x120
	s_waitcnt lgkmcnt(3)
	v_lshrrev_b32_e32 v35, 16, v12
	s_waitcnt lgkmcnt(2)
	v_lshrrev_b32_e32 v28, 16, v18
	;; [unrolled: 2-line block ×3, first 2 shown]
	v_lshrrev_b32_e32 v27, 16, v13
	v_lshrrev_b32_e32 v34, 16, v19
	v_mad_u32_u24 v30, v30, s4, 0
	s_waitcnt vmcnt(2)
	v_mul_f16_sdwa v36, v6, v28 dst_sel:DWORD dst_unused:UNUSED_PAD src0_sel:WORD_1 src1_sel:DWORD
	v_mul_f16_sdwa v37, v6, v18 dst_sel:DWORD dst_unused:UNUSED_PAD src0_sel:WORD_1 src1_sel:DWORD
	v_fma_f16 v28, v6, v28, -v37
	v_fma_f16 v36, v6, v18, v36
	s_waitcnt vmcnt(1)
	v_mul_f16_sdwa v6, v9, v35 dst_sel:DWORD dst_unused:UNUSED_PAD src0_sel:WORD_1 src1_sel:DWORD
	v_mul_f16_sdwa v38, v7, v23 dst_sel:DWORD dst_unused:UNUSED_PAD src0_sel:WORD_1 src1_sel:DWORD
	;; [unrolled: 1-line block ×4, first 2 shown]
	v_fma_f16 v12, v9, v12, v6
	v_lshrrev_b32_e32 v6, 16, v22
	v_fma_f16 v29, v7, v29, -v38
	v_fma_f16 v23, v7, v23, v39
	s_waitcnt vmcnt(0)
	v_mul_f16_sdwa v7, v10, v6 dst_sel:DWORD dst_unused:UNUSED_PAD src0_sel:WORD_1 src1_sel:DWORD
	v_fma_f16 v38, v9, v35, -v42
	v_fma_f16 v35, v10, v22, v7
	v_mul_f16_sdwa v7, v10, v22 dst_sel:DWORD dst_unused:UNUSED_PAD src0_sel:WORD_1 src1_sel:DWORD
	v_mul_f16_sdwa v40, v8, v34 dst_sel:DWORD dst_unused:UNUSED_PAD src0_sel:WORD_1 src1_sel:DWORD
	v_fma_f16 v39, v10, v6, -v7
	v_mul_f16_sdwa v6, v27, v11 dst_sel:DWORD dst_unused:UNUSED_PAD src0_sel:DWORD src1_sel:WORD_1
	v_mul_f16_sdwa v41, v8, v19 dst_sel:DWORD dst_unused:UNUSED_PAD src0_sel:WORD_1 src1_sel:DWORD
	v_fma_f16 v37, v8, v19, v40
	v_fma_f16 v40, v13, v11, v6
	v_mul_f16_sdwa v6, v13, v11 dst_sel:DWORD dst_unused:UNUSED_PAD src0_sel:DWORD src1_sel:WORD_1
	v_fma_f16 v34, v8, v34, -v41
	v_fma_f16 v41, v27, v11, -v6
	ds_read2_b32 v[10:11], v1 offset0:88 offset1:176
	v_add_f16_e32 v6, v36, v23
	s_waitcnt lgkmcnt(1)
	v_fma_f16 v7, v6, -0.5, v26
	v_sub_f16_e32 v8, v28, v29
	v_fma_f16 v6, v8, s0, v7
	v_fma_f16 v7, v8, s1, v7
	v_add_f16_e32 v8, v35, v40
	s_waitcnt lgkmcnt(0)
	v_fma_f16 v9, v8, -0.5, v11
	v_sub_f16_e32 v13, v39, v41
	v_fma_f16 v8, v13, s0, v9
	v_fma_f16 v9, v13, s1, v9
	v_lshrrev_b32_e32 v13, 16, v26
	v_add_f16_e32 v18, v13, v28
	v_add_f16_e32 v19, v18, v29
	;; [unrolled: 1-line block ×3, first 2 shown]
	v_fma_f16 v13, v18, -0.5, v13
	v_add_f16_e32 v18, v26, v36
	v_add_f16_e32 v18, v18, v23
	v_sub_f16_e32 v23, v36, v23
	v_mov_b32_e32 v36, 2
	v_mad_u32_u24 v22, v24, s4, 0
	v_lshlrev_b32_sdwa v24, v36, v25 dst_sel:DWORD dst_unused:UNUSED_PAD src0_sel:DWORD src1_sel:BYTE_0
	v_add3_u32 v24, v22, v24, v16
	v_fma_f16 v22, v23, s1, v13
	v_fma_f16 v23, v23, s0, v13
	v_pack_b32_f16 v13, v7, v23
	s_barrier
	v_pack_b32_f16 v25, v18, v19
	v_pack_b32_f16 v26, v6, v22
	ds_write_b32 v24, v13 offset:192
	v_lshrrev_b32_e32 v13, 16, v10
	ds_write2_b32 v24, v25, v26 offset1:24
	v_add_f16_e32 v24, v13, v34
	v_add_f16_e32 v26, v24, v38
	;; [unrolled: 1-line block ×3, first 2 shown]
	v_fma_f16 v13, v24, -0.5, v13
	v_sub_f16_e32 v24, v37, v12
	v_add_f16_e32 v28, v37, v12
	v_sub_f16_e32 v25, v34, v38
	v_fma_f16 v27, v24, s1, v13
	v_fma_f16 v24, v24, s0, v13
	v_add_f16_e32 v13, v10, v37
	v_fma_f16 v10, v28, -0.5, v10
	v_lshrrev_b32_e32 v29, 16, v11
	v_add_f16_e32 v12, v13, v12
	v_fma_f16 v13, v25, s0, v10
	v_fma_f16 v10, v25, s1, v10
	v_add_f16_e32 v25, v29, v39
	v_add_f16_e32 v28, v25, v41
	;; [unrolled: 1-line block ×3, first 2 shown]
	v_fma_f16 v25, v25, -0.5, v29
	v_sub_f16_e32 v34, v35, v40
	v_lshlrev_b32_sdwa v31, v36, v31 dst_sel:DWORD dst_unused:UNUSED_PAD src0_sel:DWORD src1_sel:BYTE_0
	v_fma_f16 v29, v34, s1, v25
	v_fma_f16 v25, v34, s0, v25
	v_add3_u32 v30, v30, v31, v16
	v_pack_b32_f16 v31, v12, v26
	v_pack_b32_f16 v34, v13, v27
	v_add_f16_e32 v11, v11, v35
	ds_write2_b32 v30, v31, v34 offset1:24
	v_pack_b32_f16 v31, v10, v24
	v_add_f16_e32 v11, v11, v40
	ds_write_b32 v30, v31 offset:192
	v_mad_u32_u24 v30, v32, s4, 0
	v_lshlrev_b32_e32 v31, 2, v33
	v_add3_u32 v16, v30, v31, v16
	v_pack_b32_f16 v30, v11, v28
	v_pack_b32_f16 v31, v8, v29
	s_movk_i32 s0, 0x48
	ds_write2_b32 v16, v30, v31 offset1:24
	v_pack_b32_f16 v30, v9, v25
	v_cmp_gt_u32_e64 s[0:1], s0, v0
	ds_write_b32 v16, v30 offset:192
	s_waitcnt lgkmcnt(0)
	s_barrier
	s_waitcnt lgkmcnt(0)
                                        ; implicit-def: $vgpr16
	s_and_saveexec_b64 s[4:5], s[0:1]
	s_cbranch_execz .LBB0_31
; %bb.30:
	v_add_u32_e32 v10, 0x200, v1
	ds_read_b32 v18, v15
	ds_read2_b32 v[6:7], v1 offset0:72 offset1:144
	ds_read2_b32 v[8:9], v21 offset0:120 offset1:192
	;; [unrolled: 1-line block ×5, first 2 shown]
	s_waitcnt lgkmcnt(5)
	v_lshrrev_b32_e32 v19, 16, v18
	s_waitcnt lgkmcnt(3)
	v_lshrrev_b32_e32 v25, 16, v9
	;; [unrolled: 2-line block ×3, first 2 shown]
	v_lshrrev_b32_e32 v16, 16, v5
	v_lshrrev_b32_e32 v22, 16, v6
	v_lshrrev_b32_e32 v23, 16, v7
	s_waitcnt lgkmcnt(1)
	v_lshrrev_b32_e32 v26, 16, v12
	v_lshrrev_b32_e32 v27, 16, v13
	s_waitcnt lgkmcnt(0)
	v_lshrrev_b32_e32 v24, 16, v10
	v_lshrrev_b32_e32 v28, 16, v11
	;; [unrolled: 1-line block ×3, first 2 shown]
.LBB0_31:
	s_or_b64 exec, exec, s[4:5]
	s_barrier
	s_and_saveexec_b64 s[4:5], s[0:1]
	s_cbranch_execz .LBB0_33
; %bb.32:
	v_add_u32_e32 v20, 0xffffffb8, v0
	v_cndmask_b32_e64 v20, v20, v0, s[0:1]
	v_mul_i32_i24_e32 v20, 10, v20
	v_mov_b32_e32 v21, 0
	v_lshlrev_b64 v[20:21], 2, v[20:21]
	v_mov_b32_e32 v30, s9
	v_add_co_u32_e64 v20, s[0:1], s8, v20
	v_addc_co_u32_e64 v21, s[0:1], v30, v21, s[0:1]
	global_load_dwordx4 v[30:33], v[20:21], off offset:280
	global_load_dwordx2 v[38:39], v[20:21], off offset:312
	global_load_dwordx4 v[34:37], v[20:21], off offset:296
	s_movk_i32 s1, 0x36a6
	s_mov_b32 s0, 0xb93d
	s_mov_b32 s6, 0xbbad
	;; [unrolled: 1-line block ×3, first 2 shown]
	s_movk_i32 s8, 0x3abb
	s_movk_i32 s9, 0x3853
	;; [unrolled: 1-line block ×3, first 2 shown]
	s_waitcnt vmcnt(2)
	v_mul_f16_sdwa v20, v22, v30 dst_sel:DWORD dst_unused:UNUSED_PAD src0_sel:DWORD src1_sel:WORD_1
	s_waitcnt vmcnt(1)
	v_mul_f16_sdwa v46, v16, v39 dst_sel:DWORD dst_unused:UNUSED_PAD src0_sel:DWORD src1_sel:WORD_1
	v_mul_f16_sdwa v21, v23, v31 dst_sel:DWORD dst_unused:UNUSED_PAD src0_sel:DWORD src1_sel:WORD_1
	;; [unrolled: 1-line block ×7, first 2 shown]
	s_waitcnt vmcnt(0)
	v_mul_f16_sdwa v56, v11, v35 dst_sel:DWORD dst_unused:UNUSED_PAD src0_sel:DWORD src1_sel:WORD_1
	v_fma_f16 v6, v6, v30, v20
	v_fma_f16 v5, v5, v39, v46
	v_mul_f16_sdwa v42, v26, v32 dst_sel:DWORD dst_unused:UNUSED_PAD src0_sel:DWORD src1_sel:WORD_1
	v_mul_f16_sdwa v43, v27, v33 dst_sel:DWORD dst_unused:UNUSED_PAD src0_sel:DWORD src1_sel:WORD_1
	;; [unrolled: 1-line block ×7, first 2 shown]
	v_fma_f16 v7, v7, v31, v21
	v_fma_f16 v20, v22, v30, -v40
	v_fma_f16 v21, v23, v31, -v41
	;; [unrolled: 1-line block ×3, first 2 shown]
	v_fma_f16 v4, v4, v38, v48
	v_fma_f16 v16, v16, v39, -v47
	v_fma_f16 v27, v28, v35, -v56
	v_sub_f16_e32 v28, v6, v5
	v_mul_f16_sdwa v51, v9, v37 dst_sel:DWORD dst_unused:UNUSED_PAD src0_sel:DWORD src1_sel:WORD_1
	v_mul_f16_sdwa v52, v29, v36 dst_sel:DWORD dst_unused:UNUSED_PAD src0_sel:DWORD src1_sel:WORD_1
	v_fma_f16 v12, v12, v32, v42
	v_fma_f16 v13, v13, v33, v43
	v_fma_f16 v22, v26, v32, -v44
	v_fma_f16 v17, v17, v38, -v49
	v_fma_f16 v9, v9, v37, v50
	v_fma_f16 v26, v29, v36, -v53
	v_add_f16_e32 v29, v20, v16
	v_sub_f16_e32 v30, v7, v4
	v_sub_f16_e32 v33, v20, v16
	v_mul_f16_e32 v44, 0xbb47, v28
	v_mul_f16_sdwa v54, v24, v34 dst_sel:DWORD dst_unused:UNUSED_PAD src0_sel:DWORD src1_sel:WORD_1
	v_mul_f16_sdwa v57, v10, v34 dst_sel:DWORD dst_unused:UNUSED_PAD src0_sel:DWORD src1_sel:WORD_1
	v_fma_f16 v8, v8, v36, v52
	v_fma_f16 v25, v25, v37, -v51
	v_fma_f16 v11, v11, v35, v55
	v_add_f16_e32 v31, v21, v17
	v_add_f16_e32 v32, v6, v5
	v_sub_f16_e32 v35, v21, v17
	v_sub_f16_e32 v36, v12, v9
	v_mul_f16_e32 v45, 0xba0c, v30
	v_mul_f16_e32 v46, 0xbb47, v33
	v_fma_f16 v52, v29, s1, v44
	v_fma_f16 v10, v10, v34, v54
	v_fma_f16 v24, v24, v34, -v57
	v_add_f16_e32 v34, v7, v4
	v_add_f16_e32 v37, v22, v25
	v_sub_f16_e32 v38, v13, v8
	v_mul_f16_e32 v47, 0xba0c, v35
	v_mul_f16_e32 v48, 0x3482, v36
	v_fma_f16 v53, v31, s0, v45
	v_fma_f16 v54, v32, s1, -v46
	v_add_f16_e32 v52, v19, v52
	v_add_f16_e32 v39, v23, v26
	v_sub_f16_e32 v40, v10, v11
	v_sub_f16_e32 v43, v22, v25
	v_mul_f16_e32 v49, 0x3beb, v38
	v_fma_f16 v55, v34, s0, -v47
	v_fma_f16 v56, v37, s6, v48
	v_add_f16_e32 v54, v18, v54
	v_add_f16_e32 v52, v53, v52
	v_add_f16_e32 v41, v24, v27
	v_add_f16_e32 v42, v12, v9
	v_mul_f16_e32 v50, 0x3853, v40
	v_mul_f16_e32 v51, 0x3482, v43
	v_fma_f16 v57, v39, s7, v49
	v_add_f16_e32 v53, v55, v54
	v_add_f16_e32 v52, v56, v52
	v_sub_f16_e32 v55, v23, v26
	v_fma_f16 v58, v41, s8, v50
	v_fma_f16 v59, v42, s6, -v51
	v_add_f16_e32 v52, v57, v52
	v_add_f16_e32 v54, v13, v8
	v_mul_f16_e32 v56, 0x3beb, v55
	v_add_f16_e32 v52, v58, v52
	v_add_f16_e32 v53, v59, v53
	v_fma_f16 v57, v54, s7, -v56
	v_sub_f16_e32 v58, v24, v27
	v_add_f16_e32 v53, v57, v53
	v_add_f16_e32 v57, v10, v11
	v_mul_f16_e32 v59, 0x3853, v58
	v_fma_f16 v60, v57, s8, -v59
	v_add_f16_e32 v53, v60, v53
	v_mul_f16_e32 v60, 0xbbeb, v28
	v_fma_f16 v61, v29, s7, v60
	v_mul_f16_e32 v62, 0x3482, v30
	v_add_f16_e32 v61, v19, v61
	v_fma_f16 v63, v31, s6, v62
	v_add_f16_e32 v61, v63, v61
	v_mul_f16_e32 v63, 0x3b47, v36
	v_fma_f16 v64, v37, s1, v63
	v_add_f16_e32 v61, v64, v61
	v_mul_f16_e32 v64, 0xb853, v38
	;; [unrolled: 3-line block ×4, first 2 shown]
	v_fma_f16 v67, v32, s7, -v66
	v_mul_f16_e32 v68, 0x3482, v35
	v_add_f16_e32 v67, v18, v67
	v_fma_f16 v69, v34, s6, -v68
	v_add_f16_e32 v67, v69, v67
	v_mul_f16_e32 v69, 0x3b47, v43
	v_fma_f16 v70, v42, s1, -v69
	v_add_f16_e32 v67, v70, v67
	v_mul_f16_e32 v70, 0xb853, v55
	v_fma_f16 v71, v54, s8, -v70
	v_add_f16_e32 v67, v71, v67
	v_mul_f16_e32 v71, 0xba0c, v58
	v_fma_f16 v72, v57, s0, -v71
	v_add_f16_e32 v67, v72, v67
	v_mul_f16_e32 v72, 0xba0c, v28
	v_fma_f16 v73, v29, s0, v72
	v_mul_f16_e32 v74, 0x3beb, v30
	v_add_f16_e32 v73, v19, v73
	v_fma_f16 v75, v31, s7, v74
	v_add_f16_e32 v73, v75, v73
	v_mul_f16_e32 v75, 0xb853, v36
	v_fma_f16 v76, v37, s8, v75
	v_add_f16_e32 v73, v76, v73
	v_mul_f16_e32 v76, 0xb482, v38
	;; [unrolled: 3-line block ×4, first 2 shown]
	v_fma_f16 v79, v32, s0, -v78
	v_mul_f16_e32 v80, 0x3beb, v35
	v_add_f16_e32 v79, v18, v79
	v_fma_f16 v81, v34, s7, -v80
	v_add_f16_e32 v79, v81, v79
	v_mul_f16_e32 v81, 0xb853, v43
	v_fma_f16 v82, v42, s8, -v81
	v_fma_f16 v44, v29, s1, -v44
	v_add_f16_e32 v79, v82, v79
	v_mul_f16_e32 v82, 0xb482, v55
	v_add_f16_e32 v44, v19, v44
	v_fma_f16 v45, v31, s0, -v45
	v_fma_f16 v83, v54, s6, -v82
	v_add_f16_e32 v44, v45, v44
	v_fma_f16 v45, v37, s6, -v48
	v_add_f16_e32 v79, v83, v79
	v_mul_f16_e32 v83, 0x3b47, v58
	v_add_f16_e32 v44, v45, v44
	v_fma_f16 v45, v39, s7, -v49
	v_fma_f16 v84, v57, s1, -v83
	v_add_f16_e32 v44, v45, v44
	v_fma_f16 v45, v41, s8, -v50
	v_add_f16_e32 v6, v18, v6
	v_add_f16_e32 v79, v84, v79
	v_mul_f16_e32 v84, 0xb482, v28
	v_add_f16_e32 v44, v45, v44
	v_fma_f16 v45, v32, s1, v46
	v_add_f16_e32 v6, v6, v7
	v_fma_f16 v85, v29, s6, v84
	v_mul_f16_e32 v86, 0x3853, v30
	v_add_f16_e32 v45, v18, v45
	v_fma_f16 v46, v34, s0, v47
	v_add_f16_e32 v6, v6, v12
	v_add_f16_e32 v85, v19, v85
	v_fma_f16 v87, v31, s8, v86
	v_add_f16_e32 v45, v46, v45
	v_fma_f16 v46, v42, s6, v51
	v_add_f16_e32 v6, v6, v13
	v_add_f16_e32 v85, v87, v85
	v_mul_f16_e32 v87, 0xba0c, v36
	v_add_f16_e32 v45, v46, v45
	v_fma_f16 v46, v54, s7, v56
	v_add_f16_e32 v6, v6, v10
	v_fma_f16 v88, v37, s0, v87
	v_fma_f16 v84, v29, s6, -v84
	v_fma_f16 v72, v29, s0, -v72
	;; [unrolled: 1-line block ×3, first 2 shown]
	v_add_f16_e32 v45, v46, v45
	v_fma_f16 v46, v57, s8, v59
	v_mul_f16_e32 v29, 0x3abb, v29
	v_add_f16_e32 v6, v6, v11
	v_add_f16_e32 v85, v88, v85
	v_mul_f16_e32 v88, 0x3b47, v38
	v_add_f16_e32 v84, v19, v84
	v_fma_f16 v86, v31, s8, -v86
	v_add_f16_e32 v72, v19, v72
	v_fma_f16 v74, v31, s7, -v74
	;; [unrolled: 2-line block ×3, first 2 shown]
	v_add_f16_e32 v45, v46, v45
	v_fma_f16 v46, v28, s9, v29
	v_mul_f16_e32 v31, 0x36a6, v31
	v_add_f16_e32 v6, v6, v8
	v_fma_f16 v89, v39, s1, v88
	v_add_f16_e32 v84, v86, v84
	v_fma_f16 v86, v37, s0, -v87
	v_add_f16_e32 v72, v74, v72
	v_fma_f16 v74, v37, s8, -v75
	;; [unrolled: 2-line block ×3, first 2 shown]
	v_add_f16_e32 v46, v19, v46
	v_fma_f16 v47, v30, s10, v31
	s_movk_i32 s9, 0x3beb
	v_mul_f16_e32 v37, 0xb08e, v37
	v_add_f16_e32 v6, v6, v9
	v_add_f16_e32 v85, v89, v85
	v_mul_f16_e32 v89, 0xbbeb, v40
	v_add_f16_e32 v84, v86, v84
	v_fma_f16 v86, v39, s1, -v88
	v_add_f16_e32 v72, v74, v72
	v_fma_f16 v74, v39, s6, -v76
	;; [unrolled: 2-line block ×3, first 2 shown]
	v_add_f16_e32 v46, v47, v46
	v_fma_f16 v47, v36, s9, v37
	v_mul_f16_e32 v39, 0xb93d, v39
	s_movk_i32 s9, 0x3a0c
	v_add_f16_e32 v4, v6, v4
	v_fma_f16 v90, v41, s7, v89
	v_add_f16_e32 v84, v86, v84
	v_fma_f16 v86, v41, s7, -v89
	v_add_f16_e32 v72, v74, v72
	v_fma_f16 v74, v41, s1, -v77
	;; [unrolled: 2-line block ×3, first 2 shown]
	v_add_f16_e32 v46, v47, v46
	v_fma_f16 v47, v38, s9, v39
	s_movk_i32 s9, 0x3482
	v_mul_f16_e32 v41, 0xbbad, v41
	v_add_f16_e32 v4, v4, v5
	v_add_f16_e32 v5, v19, v20
	;; [unrolled: 1-line block ×3, first 2 shown]
	v_mul_f16_e32 v90, 0xb482, v33
	v_add_f16_e32 v46, v47, v46
	v_fma_f16 v47, v40, s9, v41
	v_add_f16_e32 v5, v5, v21
	s_mov_b32 s9, 0xb853
	v_fma_f16 v91, v32, s6, -v90
	v_mul_f16_e32 v92, 0x3853, v35
	v_mul_f16_e32 v33, 0xb853, v33
	v_add_f16_e32 v5, v5, v22
	v_fma_f16 v6, v28, s9, v29
	s_mov_b32 s9, 0xbb47
	v_add_f16_e32 v91, v18, v91
	v_fma_f16 v93, v34, s8, -v92
	v_add_f16_e32 v46, v47, v46
	v_fma_f16 v47, v32, s8, v33
	v_mul_f16_e32 v35, 0xbb47, v35
	v_add_f16_e32 v5, v5, v23
	v_add_f16_e32 v6, v19, v6
	v_fma_f16 v7, v30, s9, v31
	s_mov_b32 s9, 0xbbeb
	v_add_f16_e32 v91, v93, v91
	v_mul_f16_e32 v93, 0xba0c, v43
	v_add_f16_e32 v47, v18, v47
	v_fma_f16 v48, v34, s1, v35
	v_mul_f16_e32 v43, 0xbbeb, v43
	v_add_f16_e32 v5, v5, v24
	v_add_f16_e32 v6, v7, v6
	v_fma_f16 v7, v36, s9, v37
	s_mov_b32 s9, 0xba0c
	v_add_f16_e32 v47, v48, v47
	v_fma_f16 v48, v42, s7, v43
	v_add_f16_e32 v5, v5, v27
	v_add_f16_e32 v6, v7, v6
	v_fma_f16 v7, v38, s9, v39
	s_mov_b32 s9, 0xb482
	v_add_f16_e32 v72, v74, v72
	v_fma_f16 v74, v32, s0, v78
	v_add_f16_e32 v60, v62, v60
	v_fma_f16 v62, v32, s7, v66
	v_add_f16_e32 v47, v48, v47
	v_mul_f16_e32 v48, 0xba0c, v55
	v_add_f16_e32 v5, v5, v26
	v_add_f16_e32 v6, v7, v6
	v_fma_f16 v7, v40, s9, v41
	v_fma_f16 v94, v42, s0, -v93
	v_add_f16_e32 v84, v86, v84
	v_fma_f16 v86, v32, s6, v90
	v_add_f16_e32 v74, v18, v74
	v_fma_f16 v75, v34, s7, v80
	;; [unrolled: 2-line block ×3, first 2 shown]
	v_fma_f16 v49, v54, s0, v48
	v_add_f16_e32 v5, v5, v25
	v_add_f16_e32 v6, v7, v6
	v_fma_f16 v7, v32, s8, -v33
	v_add_f16_e32 v91, v94, v91
	v_mul_f16_e32 v94, 0x3b47, v55
	v_add_f16_e32 v86, v18, v86
	v_fma_f16 v87, v34, s8, v92
	v_add_f16_e32 v74, v75, v74
	v_fma_f16 v75, v42, s8, v81
	;; [unrolled: 2-line block ×3, first 2 shown]
	v_add_f16_e32 v47, v49, v47
	v_mul_f16_e32 v49, 0xb482, v58
	v_add_f16_e32 v5, v5, v17
	v_add_f16_e32 v7, v18, v7
	v_fma_f16 v8, v34, s1, -v35
	v_fma_f16 v95, v54, s1, -v94
	v_add_f16_e32 v86, v87, v86
	v_fma_f16 v87, v42, s0, v93
	v_add_f16_e32 v74, v75, v74
	v_fma_f16 v75, v54, s6, v82
	;; [unrolled: 2-line block ×3, first 2 shown]
	v_fma_f16 v50, v57, s6, v49
	v_add_f16_e32 v5, v5, v16
	v_add_f16_e32 v7, v8, v7
	v_fma_f16 v8, v42, s7, -v43
	v_add_f16_e32 v91, v95, v91
	v_mul_f16_e32 v95, 0xbbeb, v58
	v_add_f16_e32 v86, v87, v86
	v_fma_f16 v87, v54, s1, v94
	v_add_f16_e32 v74, v75, v74
	v_fma_f16 v75, v57, s1, v83
	;; [unrolled: 2-line block ×3, first 2 shown]
	v_add_f16_e32 v47, v50, v47
	v_add_f16_e32 v7, v8, v7
	v_fma_f16 v8, v54, s0, -v48
	v_pack_b32_f16 v4, v4, v5
	v_fma_f16 v96, v57, s7, -v95
	v_add_f16_e32 v86, v87, v86
	v_fma_f16 v87, v57, s7, v95
	v_add_f16_e32 v74, v75, v74
	v_add_f16_e32 v62, v63, v62
	;; [unrolled: 1-line block ×3, first 2 shown]
	v_fma_f16 v8, v57, s6, -v49
	ds_write_b32 v15, v4
	v_pack_b32_f16 v4, v47, v46
	v_pack_b32_f16 v5, v45, v44
	v_add_f16_e32 v91, v96, v91
	v_add_f16_e32 v86, v87, v86
	v_add_f16_e32 v7, v8, v7
	ds_write2_b32 v1, v4, v5 offset0:72 offset1:144
	v_pack_b32_f16 v4, v62, v60
	v_pack_b32_f16 v5, v74, v72
	v_add_u32_e32 v8, 0x200, v1
	ds_write2_b32 v8, v4, v5 offset0:88 offset1:160
	v_pack_b32_f16 v4, v86, v84
	v_pack_b32_f16 v5, v91, v85
	v_add_u32_e32 v8, 0x400, v1
	;; [unrolled: 4-line block ×4, first 2 shown]
	ds_write2_b32 v1, v4, v5 offset0:136 offset1:208
.LBB0_33:
	s_or_b64 exec, exec, s[4:5]
	s_waitcnt lgkmcnt(0)
	s_barrier
	s_and_saveexec_b64 s[0:1], vcc
	s_cbranch_execz .LBB0_35
; %bb.34:
	v_lshl_add_u32 v6, v0, 2, v14
	v_mov_b32_e32 v1, 0
	ds_read2_b32 v[4:5], v6 offset1:88
	v_mov_b32_e32 v7, s3
	v_add_co_u32_e32 v8, vcc, s2, v2
	v_addc_co_u32_e32 v7, vcc, v7, v3, vcc
	v_lshlrev_b64 v[2:3], 2, v[0:1]
	v_add_co_u32_e32 v2, vcc, v8, v2
	v_addc_co_u32_e32 v3, vcc, v7, v3, vcc
	s_waitcnt lgkmcnt(0)
	global_store_dword v[2:3], v4, off
	v_add_u32_e32 v2, 0x58, v0
	v_mov_b32_e32 v3, v1
	v_lshlrev_b64 v[2:3], 2, v[2:3]
	v_add_u32_e32 v4, 0x200, v6
	v_add_co_u32_e32 v2, vcc, v8, v2
	v_addc_co_u32_e32 v3, vcc, v7, v3, vcc
	global_store_dword v[2:3], v5, off
	v_add_u32_e32 v2, 0xb0, v0
	v_mov_b32_e32 v3, v1
	ds_read2_b32 v[4:5], v4 offset0:48 offset1:136
	v_lshlrev_b64 v[2:3], 2, v[2:3]
	v_add_co_u32_e32 v2, vcc, v8, v2
	v_addc_co_u32_e32 v3, vcc, v7, v3, vcc
	s_waitcnt lgkmcnt(0)
	global_store_dword v[2:3], v4, off
	v_add_u32_e32 v2, 0x108, v0
	v_mov_b32_e32 v3, v1
	v_lshlrev_b64 v[2:3], 2, v[2:3]
	v_add_u32_e32 v4, 0x400, v6
	v_add_co_u32_e32 v2, vcc, v8, v2
	v_addc_co_u32_e32 v3, vcc, v7, v3, vcc
	global_store_dword v[2:3], v5, off
	v_add_u32_e32 v2, 0x160, v0
	v_mov_b32_e32 v3, v1
	ds_read2_b32 v[4:5], v4 offset0:96 offset1:184
	;; [unrolled: 15-line block ×3, first 2 shown]
	v_lshlrev_b64 v[2:3], 2, v[2:3]
	v_add_co_u32_e32 v2, vcc, v8, v2
	v_addc_co_u32_e32 v3, vcc, v7, v3, vcc
	s_waitcnt lgkmcnt(0)
	global_store_dword v[2:3], v4, off
	v_add_u32_e32 v2, 0x268, v0
	v_mov_b32_e32 v3, v1
	v_lshlrev_b64 v[2:3], 2, v[2:3]
	v_add_u32_e32 v0, 0x2c0, v0
	v_add_co_u32_e32 v2, vcc, v8, v2
	v_addc_co_u32_e32 v3, vcc, v7, v3, vcc
	global_store_dword v[2:3], v5, off
	ds_read_b32 v2, v6 offset:2816
	v_lshlrev_b64 v[0:1], 2, v[0:1]
	v_add_co_u32_e32 v0, vcc, v8, v0
	v_addc_co_u32_e32 v1, vcc, v7, v1, vcc
	s_waitcnt lgkmcnt(0)
	global_store_dword v[0:1], v2, off
.LBB0_35:
	s_endpgm
	.section	.rodata,"a",@progbits
	.p2align	6, 0x0
	.amdhsa_kernel fft_rtc_back_len792_factors_2_2_2_3_3_11_wgs_176_tpt_88_half_ip_CI_unitstride_sbrr_C2R_dirReg
		.amdhsa_group_segment_fixed_size 0
		.amdhsa_private_segment_fixed_size 0
		.amdhsa_kernarg_size 88
		.amdhsa_user_sgpr_count 6
		.amdhsa_user_sgpr_private_segment_buffer 1
		.amdhsa_user_sgpr_dispatch_ptr 0
		.amdhsa_user_sgpr_queue_ptr 0
		.amdhsa_user_sgpr_kernarg_segment_ptr 1
		.amdhsa_user_sgpr_dispatch_id 0
		.amdhsa_user_sgpr_flat_scratch_init 0
		.amdhsa_user_sgpr_private_segment_size 0
		.amdhsa_uses_dynamic_stack 0
		.amdhsa_system_sgpr_private_segment_wavefront_offset 0
		.amdhsa_system_sgpr_workgroup_id_x 1
		.amdhsa_system_sgpr_workgroup_id_y 0
		.amdhsa_system_sgpr_workgroup_id_z 0
		.amdhsa_system_sgpr_workgroup_info 0
		.amdhsa_system_vgpr_workitem_id 0
		.amdhsa_next_free_vgpr 97
		.amdhsa_next_free_sgpr 22
		.amdhsa_reserve_vcc 1
		.amdhsa_reserve_flat_scratch 0
		.amdhsa_float_round_mode_32 0
		.amdhsa_float_round_mode_16_64 0
		.amdhsa_float_denorm_mode_32 3
		.amdhsa_float_denorm_mode_16_64 3
		.amdhsa_dx10_clamp 1
		.amdhsa_ieee_mode 1
		.amdhsa_fp16_overflow 0
		.amdhsa_exception_fp_ieee_invalid_op 0
		.amdhsa_exception_fp_denorm_src 0
		.amdhsa_exception_fp_ieee_div_zero 0
		.amdhsa_exception_fp_ieee_overflow 0
		.amdhsa_exception_fp_ieee_underflow 0
		.amdhsa_exception_fp_ieee_inexact 0
		.amdhsa_exception_int_div_zero 0
	.end_amdhsa_kernel
	.text
.Lfunc_end0:
	.size	fft_rtc_back_len792_factors_2_2_2_3_3_11_wgs_176_tpt_88_half_ip_CI_unitstride_sbrr_C2R_dirReg, .Lfunc_end0-fft_rtc_back_len792_factors_2_2_2_3_3_11_wgs_176_tpt_88_half_ip_CI_unitstride_sbrr_C2R_dirReg
                                        ; -- End function
	.section	.AMDGPU.csdata,"",@progbits
; Kernel info:
; codeLenInByte = 8600
; NumSgprs: 26
; NumVgprs: 97
; ScratchSize: 0
; MemoryBound: 0
; FloatMode: 240
; IeeeMode: 1
; LDSByteSize: 0 bytes/workgroup (compile time only)
; SGPRBlocks: 3
; VGPRBlocks: 24
; NumSGPRsForWavesPerEU: 26
; NumVGPRsForWavesPerEU: 97
; Occupancy: 2
; WaveLimiterHint : 1
; COMPUTE_PGM_RSRC2:SCRATCH_EN: 0
; COMPUTE_PGM_RSRC2:USER_SGPR: 6
; COMPUTE_PGM_RSRC2:TRAP_HANDLER: 0
; COMPUTE_PGM_RSRC2:TGID_X_EN: 1
; COMPUTE_PGM_RSRC2:TGID_Y_EN: 0
; COMPUTE_PGM_RSRC2:TGID_Z_EN: 0
; COMPUTE_PGM_RSRC2:TIDIG_COMP_CNT: 0
	.type	__hip_cuid_b618d6f689eac3d2,@object ; @__hip_cuid_b618d6f689eac3d2
	.section	.bss,"aw",@nobits
	.globl	__hip_cuid_b618d6f689eac3d2
__hip_cuid_b618d6f689eac3d2:
	.byte	0                               ; 0x0
	.size	__hip_cuid_b618d6f689eac3d2, 1

	.ident	"AMD clang version 19.0.0git (https://github.com/RadeonOpenCompute/llvm-project roc-6.4.0 25133 c7fe45cf4b819c5991fe208aaa96edf142730f1d)"
	.section	".note.GNU-stack","",@progbits
	.addrsig
	.addrsig_sym __hip_cuid_b618d6f689eac3d2
	.amdgpu_metadata
---
amdhsa.kernels:
  - .args:
      - .actual_access:  read_only
        .address_space:  global
        .offset:         0
        .size:           8
        .value_kind:     global_buffer
      - .offset:         8
        .size:           8
        .value_kind:     by_value
      - .actual_access:  read_only
        .address_space:  global
        .offset:         16
        .size:           8
        .value_kind:     global_buffer
      - .actual_access:  read_only
        .address_space:  global
        .offset:         24
        .size:           8
        .value_kind:     global_buffer
      - .offset:         32
        .size:           8
        .value_kind:     by_value
      - .actual_access:  read_only
        .address_space:  global
        .offset:         40
        .size:           8
        .value_kind:     global_buffer
      - .actual_access:  read_only
        .address_space:  global
        .offset:         48
        .size:           8
        .value_kind:     global_buffer
      - .offset:         56
        .size:           4
        .value_kind:     by_value
      - .actual_access:  read_only
        .address_space:  global
        .offset:         64
        .size:           8
        .value_kind:     global_buffer
      - .actual_access:  read_only
        .address_space:  global
        .offset:         72
        .size:           8
        .value_kind:     global_buffer
      - .address_space:  global
        .offset:         80
        .size:           8
        .value_kind:     global_buffer
    .group_segment_fixed_size: 0
    .kernarg_segment_align: 8
    .kernarg_segment_size: 88
    .language:       OpenCL C
    .language_version:
      - 2
      - 0
    .max_flat_workgroup_size: 176
    .name:           fft_rtc_back_len792_factors_2_2_2_3_3_11_wgs_176_tpt_88_half_ip_CI_unitstride_sbrr_C2R_dirReg
    .private_segment_fixed_size: 0
    .sgpr_count:     26
    .sgpr_spill_count: 0
    .symbol:         fft_rtc_back_len792_factors_2_2_2_3_3_11_wgs_176_tpt_88_half_ip_CI_unitstride_sbrr_C2R_dirReg.kd
    .uniform_work_group_size: 1
    .uses_dynamic_stack: false
    .vgpr_count:     97
    .vgpr_spill_count: 0
    .wavefront_size: 64
amdhsa.target:   amdgcn-amd-amdhsa--gfx906
amdhsa.version:
  - 1
  - 2
...

	.end_amdgpu_metadata
